;; amdgpu-corpus repo=ROCm/rocFFT kind=compiled arch=gfx1201 opt=O3
	.text
	.amdgcn_target "amdgcn-amd-amdhsa--gfx1201"
	.amdhsa_code_object_version 6
	.protected	fft_rtc_back_len200_factors_5_5_2_4_wgs_400_tpt_20_halfLds_dim3_sp_ip_CI_sbcc_twdbase8_2step_dirReg_intrinsicReadWrite ; -- Begin function fft_rtc_back_len200_factors_5_5_2_4_wgs_400_tpt_20_halfLds_dim3_sp_ip_CI_sbcc_twdbase8_2step_dirReg_intrinsicReadWrite
	.globl	fft_rtc_back_len200_factors_5_5_2_4_wgs_400_tpt_20_halfLds_dim3_sp_ip_CI_sbcc_twdbase8_2step_dirReg_intrinsicReadWrite
	.p2align	8
	.type	fft_rtc_back_len200_factors_5_5_2_4_wgs_400_tpt_20_halfLds_dim3_sp_ip_CI_sbcc_twdbase8_2step_dirReg_intrinsicReadWrite,@function
fft_rtc_back_len200_factors_5_5_2_4_wgs_400_tpt_20_halfLds_dim3_sp_ip_CI_sbcc_twdbase8_2step_dirReg_intrinsicReadWrite: ; @fft_rtc_back_len200_factors_5_5_2_4_wgs_400_tpt_20_halfLds_dim3_sp_ip_CI_sbcc_twdbase8_2step_dirReg_intrinsicReadWrite
; %bb.0:
	s_load_b128 s[4:7], s[0:1], 0x10
	s_mov_b32 s11, 0
	s_mov_b32 s2, 0xcccc3000
	;; [unrolled: 1-line block ×4, first 2 shown]
	s_delay_alu instid0(SALU_CYCLE_1) | instskip(SKIP_3) | instid1(SALU_CYCLE_1)
	s_add_nc_u64 s[8:9], s[10:11], s[2:3]
	s_movk_i32 s2, 0xffec
	s_mov_b32 s3, -1
	s_add_co_i32 s9, s9, 0xccccca0
	s_mul_u64 s[12:13], s[8:9], s[2:3]
	s_delay_alu instid0(SALU_CYCLE_1)
	s_mul_hi_u32 s15, s8, s13
	s_mul_i32 s14, s8, s13
	s_mul_hi_u32 s10, s8, s12
	s_mul_i32 s17, s9, s12
	s_add_nc_u64 s[14:15], s[10:11], s[14:15]
	s_mul_hi_u32 s16, s9, s12
	s_mul_hi_u32 s18, s9, s13
	s_wait_kmcnt 0x0
	s_load_b64 s[2:3], s[4:5], 0x8
	s_add_co_u32 s10, s14, s17
	s_add_co_ci_u32 s10, s15, s16
	s_mul_i32 s12, s9, s13
	s_add_co_ci_u32 s13, s18, 0
	s_delay_alu instid0(SALU_CYCLE_1) | instskip(NEXT) | instid1(SALU_CYCLE_1)
	s_add_nc_u64 s[12:13], s[10:11], s[12:13]
	v_add_co_u32 v1, s8, s8, s12
	s_delay_alu instid0(VALU_DEP_1) | instskip(SKIP_1) | instid1(VALU_DEP_1)
	s_cmp_lg_u32 s8, 0
	s_add_co_ci_u32 s14, s9, s13
	v_readfirstlane_b32 s15, v1
	s_wait_kmcnt 0x0
	s_add_nc_u64 s[8:9], s[2:3], -1
	s_wait_alu 0xfffe
	s_mul_hi_u32 s13, s8, s14
	s_mul_i32 s12, s8, s14
	s_mul_hi_u32 s10, s8, s15
	s_mul_hi_u32 s17, s9, s15
	s_mul_i32 s15, s9, s15
	s_wait_alu 0xfffe
	s_add_nc_u64 s[12:13], s[10:11], s[12:13]
	s_mul_hi_u32 s16, s9, s14
	s_wait_alu 0xfffe
	s_add_co_u32 s10, s12, s15
	s_add_co_ci_u32 s10, s13, s17
	s_mul_i32 s14, s9, s14
	s_add_co_ci_u32 s15, s16, 0
	s_delay_alu instid0(SALU_CYCLE_1) | instskip(SKIP_2) | instid1(SALU_CYCLE_1)
	s_add_nc_u64 s[12:13], s[10:11], s[14:15]
	s_wait_alu 0xfffe
	s_mul_u64 s[14:15], s[12:13], 20
	v_sub_co_u32 v1, s8, s8, s14
	s_delay_alu instid0(VALU_DEP_1) | instskip(SKIP_1) | instid1(VALU_DEP_1)
	s_cmp_lg_u32 s8, 0
	s_sub_co_ci_u32 s16, s9, s15
	v_sub_co_u32 v2, s10, v1, 20
	s_delay_alu instid0(VALU_DEP_1) | instskip(SKIP_2) | instid1(VALU_DEP_1)
	s_cmp_lg_u32 s10, 0
	s_add_nc_u64 s[14:15], s[12:13], 2
	s_sub_co_ci_u32 s10, s16, 0
	v_readfirstlane_b32 s8, v2
	s_delay_alu instid0(VALU_DEP_1)
	s_cmp_gt_u32 s8, 19
	s_add_nc_u64 s[8:9], s[12:13], 1
	s_cselect_b32 s17, -1, 0
	s_cmp_eq_u32 s10, 0
	s_cselect_b32 s10, s17, -1
	v_readfirstlane_b32 s17, v1
	s_cmp_lg_u32 s10, 0
	s_wait_alu 0xfffe
	s_cselect_b32 s8, s14, s8
	s_cselect_b32 s9, s15, s9
	s_cmp_gt_u32 s17, 19
	s_cselect_b32 s10, -1, 0
	s_cmp_eq_u32 s16, 0
	s_mov_b64 s[16:17], 0
	s_cselect_b32 s10, s10, -1
	s_delay_alu instid0(SALU_CYCLE_1)
	s_cmp_lg_u32 s10, 0
	s_mov_b32 s10, ttmp9
	s_wait_alu 0xfffe
	s_cselect_b32 s9, s9, s13
	s_cselect_b32 s8, s8, s12
	s_wait_alu 0xfffe
	s_add_nc_u64 s[12:13], s[8:9], 1
	s_wait_alu 0xfffe
	v_cmp_lt_u64_e64 s8, s[10:11], s[12:13]
	s_delay_alu instid0(VALU_DEP_1)
	s_and_b32 vcc_lo, exec_lo, s8
	s_cbranch_vccnz .LBB0_2
; %bb.1:
	v_cvt_f32_u32_e32 v1, s12
	s_sub_co_i32 s9, 0, s12
	s_mov_b32 s17, s11
	s_delay_alu instid0(VALU_DEP_1) | instskip(NEXT) | instid1(TRANS32_DEP_1)
	v_rcp_iflag_f32_e32 v1, v1
	v_mul_f32_e32 v1, 0x4f7ffffe, v1
	s_delay_alu instid0(VALU_DEP_1) | instskip(NEXT) | instid1(VALU_DEP_1)
	v_cvt_u32_f32_e32 v1, v1
	v_readfirstlane_b32 s8, v1
	s_wait_alu 0xfffe
	s_delay_alu instid0(VALU_DEP_1)
	s_mul_i32 s9, s9, s8
	s_wait_alu 0xfffe
	s_mul_hi_u32 s9, s8, s9
	s_wait_alu 0xfffe
	s_add_co_i32 s8, s8, s9
	s_wait_alu 0xfffe
	s_mul_hi_u32 s8, s10, s8
	s_wait_alu 0xfffe
	s_mul_i32 s9, s8, s12
	s_add_co_i32 s14, s8, 1
	s_wait_alu 0xfffe
	s_sub_co_i32 s9, s10, s9
	s_wait_alu 0xfffe
	s_sub_co_i32 s15, s9, s12
	s_cmp_ge_u32 s9, s12
	s_cselect_b32 s8, s14, s8
	s_wait_alu 0xfffe
	s_cselect_b32 s9, s15, s9
	s_add_co_i32 s14, s8, 1
	s_wait_alu 0xfffe
	s_cmp_ge_u32 s9, s12
	s_cselect_b32 s16, s14, s8
.LBB0_2:
	s_load_b64 s[22:23], s[4:5], 0x10
	s_load_b64 s[14:15], s[6:7], 0x8
	s_mov_b64 s[18:19], s[16:17]
	s_wait_kmcnt 0x0
	v_cmp_lt_u64_e64 s4, s[16:17], s[22:23]
	s_delay_alu instid0(VALU_DEP_1)
	s_and_b32 vcc_lo, exec_lo, s4
	s_cbranch_vccnz .LBB0_4
; %bb.3:
	v_cvt_f32_u32_e32 v1, s22
	s_sub_co_i32 s5, 0, s22
	s_mov_b32 s19, 0
	s_delay_alu instid0(VALU_DEP_1) | instskip(NEXT) | instid1(TRANS32_DEP_1)
	v_rcp_iflag_f32_e32 v1, v1
	v_mul_f32_e32 v1, 0x4f7ffffe, v1
	s_delay_alu instid0(VALU_DEP_1) | instskip(NEXT) | instid1(VALU_DEP_1)
	v_cvt_u32_f32_e32 v1, v1
	v_readfirstlane_b32 s4, v1
	s_delay_alu instid0(VALU_DEP_1) | instskip(NEXT) | instid1(SALU_CYCLE_1)
	s_mul_i32 s5, s5, s4
	s_mul_hi_u32 s5, s4, s5
	s_delay_alu instid0(SALU_CYCLE_1) | instskip(NEXT) | instid1(SALU_CYCLE_1)
	s_add_co_i32 s4, s4, s5
	s_mul_hi_u32 s4, s16, s4
	s_delay_alu instid0(SALU_CYCLE_1) | instskip(NEXT) | instid1(SALU_CYCLE_1)
	s_mul_i32 s4, s4, s22
	s_sub_co_i32 s4, s16, s4
	s_delay_alu instid0(SALU_CYCLE_1) | instskip(SKIP_2) | instid1(SALU_CYCLE_1)
	s_sub_co_i32 s5, s4, s22
	s_cmp_ge_u32 s4, s22
	s_cselect_b32 s4, s5, s4
	s_sub_co_i32 s5, s4, s22
	s_cmp_ge_u32 s4, s22
	s_cselect_b32 s18, s5, s4
.LBB0_4:
	s_load_b64 s[4:5], s[0:1], 0x50
	s_clause 0x1
	s_load_b64 s[8:9], s[6:7], 0x0
	s_load_b64 s[20:21], s[6:7], 0x10
	s_mul_u64 s[24:25], s[22:23], s[12:13]
	s_mov_b64 s[22:23], 0
	s_wait_kmcnt 0x0
	v_cmp_lt_u64_e64 s9, s[10:11], s[24:25]
	s_delay_alu instid0(VALU_DEP_1)
	s_and_b32 vcc_lo, exec_lo, s9
	s_cbranch_vccnz .LBB0_6
; %bb.5:
	v_cvt_f32_u32_e32 v1, s24
	s_sub_co_i32 s22, 0, s24
	s_delay_alu instid0(VALU_DEP_1) | instskip(NEXT) | instid1(TRANS32_DEP_1)
	v_rcp_iflag_f32_e32 v1, v1
	v_mul_f32_e32 v1, 0x4f7ffffe, v1
	s_delay_alu instid0(VALU_DEP_1) | instskip(NEXT) | instid1(VALU_DEP_1)
	v_cvt_u32_f32_e32 v1, v1
	v_readfirstlane_b32 s9, v1
	s_wait_alu 0xfffe
	s_delay_alu instid0(VALU_DEP_1)
	s_mul_i32 s22, s22, s9
	s_wait_alu 0xfffe
	s_mul_hi_u32 s22, s9, s22
	s_wait_alu 0xfffe
	s_add_co_i32 s9, s9, s22
	s_wait_alu 0xfffe
	s_mul_hi_u32 s9, s10, s9
	s_wait_alu 0xfffe
	s_mul_i32 s22, s9, s24
	s_add_co_i32 s23, s9, 1
	s_wait_alu 0xfffe
	s_sub_co_i32 s22, s10, s22
	s_wait_alu 0xfffe
	s_sub_co_i32 s25, s22, s24
	s_cmp_ge_u32 s22, s24
	s_cselect_b32 s9, s23, s9
	s_wait_alu 0xfffe
	s_cselect_b32 s22, s25, s22
	s_add_co_i32 s25, s9, 1
	s_wait_alu 0xfffe
	s_cmp_ge_u32 s22, s24
	s_mov_b32 s23, 0
	s_cselect_b32 s22, s25, s9
.LBB0_6:
	v_mul_u32_u24_e32 v1, 0xccd, v0
	s_load_b64 s[6:7], s[6:7], 0x18
	s_mul_u64 s[12:13], s[16:17], s[12:13]
	v_mov_b32_e32 v9, 0
	s_wait_alu 0xfffe
	s_sub_nc_u64 s[10:11], s[10:11], s[12:13]
	v_lshrrev_b32_e32 v30, 16, v1
	s_wait_alu 0xfffe
	s_mul_u64 s[10:11], s[10:11], 20
	s_mul_u64 s[12:13], s[20:21], s[18:19]
	s_wait_alu 0xfffe
	s_add_nc_u64 s[18:19], s[10:11], 20
	s_mul_u64 s[16:17], s[14:15], s[10:11]
	v_mul_lo_u16 v1, v30, 20
	s_wait_alu 0xfffe
	s_add_nc_u64 s[12:13], s[12:13], s[16:17]
	s_delay_alu instid0(VALU_DEP_1) | instskip(NEXT) | instid1(VALU_DEP_1)
	v_sub_nc_u16 v1, v0, v1
	v_and_b32_e32 v25, 0xffff, v1
	s_wait_kmcnt 0x0
	s_mul_u64 s[6:7], s[6:7], s[22:23]
	s_delay_alu instid0(VALU_DEP_1) | instskip(NEXT) | instid1(VALU_DEP_1)
	v_mad_co_u64_u32 v[7:8], null, s14, v25, 0
	v_mov_b32_e32 v1, v8
	s_delay_alu instid0(VALU_DEP_1)
	v_mad_co_u64_u32 v[1:2], null, s15, v25, v[1:2]
	v_mov_b32_e32 v2, 0
	v_add_co_u32 v5, s9, s10, v25
	s_wait_alu 0xf1ff
	v_add_co_ci_u32_e64 v6, null, s11, 0, s9
	v_cmp_le_u64_e64 s9, s[18:19], s[2:3]
	v_mov_b32_e32 v1, 0
	s_wait_alu 0xfffe
	s_add_nc_u64 s[10:11], s[6:7], s[12:13]
	v_cmp_gt_u64_e32 vcc_lo, s[2:3], v[5:6]
	s_delay_alu instid0(VALU_DEP_3)
	s_or_b32 s11, s9, vcc_lo
	s_wait_alu 0xfffe
	s_and_saveexec_b32 s3, s11
	s_cbranch_execz .LBB0_8
; %bb.7:
	v_mul_lo_u32 v1, s8, v30
	v_mov_b32_e32 v2, 0
	s_delay_alu instid0(VALU_DEP_2) | instskip(NEXT) | instid1(VALU_DEP_1)
	v_add3_u32 v1, s10, v7, v1
	v_lshlrev_b64_e32 v[1:2], 3, v[1:2]
	s_delay_alu instid0(VALU_DEP_1) | instskip(SKIP_1) | instid1(VALU_DEP_2)
	v_add_co_u32 v1, s2, s4, v1
	s_wait_alu 0xf1ff
	v_add_co_ci_u32_e64 v2, s2, s5, v2, s2
	global_load_b64 v[1:2], v[1:2], off
.LBB0_8:
	s_wait_alu 0xfffe
	s_or_b32 exec_lo, exec_lo, s3
	v_add_nc_u32_e32 v28, 40, v30
	v_mov_b32_e32 v8, 0
	s_and_saveexec_b32 s3, s11
	s_cbranch_execz .LBB0_10
; %bb.9:
	s_delay_alu instid0(VALU_DEP_2) | instskip(SKIP_1) | instid1(VALU_DEP_2)
	v_mul_lo_u32 v3, s8, v28
	v_mov_b32_e32 v4, 0
	v_add3_u32 v3, s10, v7, v3
	s_delay_alu instid0(VALU_DEP_1) | instskip(NEXT) | instid1(VALU_DEP_1)
	v_lshlrev_b64_e32 v[3:4], 3, v[3:4]
	v_add_co_u32 v3, s2, s4, v3
	s_wait_alu 0xf1ff
	s_delay_alu instid0(VALU_DEP_2)
	v_add_co_ci_u32_e64 v4, s2, s5, v4, s2
	global_load_b64 v[8:9], v[3:4], off
.LBB0_10:
	s_wait_alu 0xfffe
	s_or_b32 exec_lo, exec_lo, s3
	v_dual_mov_b32 v11, 0 :: v_dual_add_nc_u32 v6, 0x50, v30
	v_dual_mov_b32 v13, 0 :: v_dual_mov_b32 v12, 0
	s_and_saveexec_b32 s3, s11
	s_cbranch_execz .LBB0_12
; %bb.11:
	s_delay_alu instid0(VALU_DEP_2) | instskip(SKIP_1) | instid1(VALU_DEP_2)
	v_mul_lo_u32 v3, s8, v6
	v_mov_b32_e32 v4, 0
	v_add3_u32 v3, s10, v7, v3
	s_delay_alu instid0(VALU_DEP_1) | instskip(NEXT) | instid1(VALU_DEP_1)
	v_lshlrev_b64_e32 v[3:4], 3, v[3:4]
	v_add_co_u32 v3, s2, s4, v3
	s_wait_alu 0xf1ff
	s_delay_alu instid0(VALU_DEP_2)
	v_add_co_ci_u32_e64 v4, s2, s5, v4, s2
	global_load_b64 v[12:13], v[3:4], off
.LBB0_12:
	s_wait_alu 0xfffe
	s_or_b32 exec_lo, exec_lo, s3
	v_mov_b32_e32 v10, 0
	s_and_saveexec_b32 s3, s11
	s_cbranch_execz .LBB0_14
; %bb.13:
	v_dual_mov_b32 v4, 0 :: v_dual_add_nc_u32 v3, 0x78, v30
	s_delay_alu instid0(VALU_DEP_1) | instskip(NEXT) | instid1(VALU_DEP_1)
	v_mul_lo_u32 v3, s8, v3
	v_add3_u32 v3, s10, v7, v3
	s_delay_alu instid0(VALU_DEP_1) | instskip(NEXT) | instid1(VALU_DEP_1)
	v_lshlrev_b64_e32 v[3:4], 3, v[3:4]
	v_add_co_u32 v3, s2, s4, v3
	s_wait_alu 0xf1ff
	s_delay_alu instid0(VALU_DEP_2)
	v_add_co_ci_u32_e64 v4, s2, s5, v4, s2
	global_load_b64 v[10:11], v[3:4], off
.LBB0_14:
	s_wait_alu 0xfffe
	s_or_b32 exec_lo, exec_lo, s3
	v_dual_mov_b32 v4, 0 :: v_dual_mov_b32 v19, 0
	v_mov_b32_e32 v18, 0
	s_and_saveexec_b32 s3, s11
	s_cbranch_execz .LBB0_16
; %bb.15:
	v_or_b32_e32 v3, 0xa0, v30
	v_mov_b32_e32 v15, 0
	s_delay_alu instid0(VALU_DEP_2) | instskip(NEXT) | instid1(VALU_DEP_1)
	v_mul_lo_u32 v3, s8, v3
	v_add3_u32 v14, s10, v7, v3
	s_delay_alu instid0(VALU_DEP_1) | instskip(NEXT) | instid1(VALU_DEP_1)
	v_lshlrev_b64_e32 v[14:15], 3, v[14:15]
	v_add_co_u32 v14, s2, s4, v14
	s_wait_alu 0xf1ff
	s_delay_alu instid0(VALU_DEP_2)
	v_add_co_ci_u32_e64 v15, s2, s5, v15, s2
	global_load_b64 v[18:19], v[14:15], off
.LBB0_16:
	s_wait_alu 0xfffe
	s_or_b32 exec_lo, exec_lo, s3
	v_add_nc_u32_e32 v29, 20, v30
	v_mov_b32_e32 v3, 0
	s_and_saveexec_b32 s3, s11
	s_cbranch_execz .LBB0_18
; %bb.17:
	s_delay_alu instid0(VALU_DEP_2) | instskip(SKIP_1) | instid1(VALU_DEP_2)
	v_mul_lo_u32 v3, s8, v29
	v_mov_b32_e32 v4, 0
	v_add3_u32 v3, s10, v7, v3
	s_delay_alu instid0(VALU_DEP_1) | instskip(NEXT) | instid1(VALU_DEP_1)
	v_lshlrev_b64_e32 v[3:4], 3, v[3:4]
	v_add_co_u32 v3, s2, s4, v3
	s_wait_alu 0xf1ff
	s_delay_alu instid0(VALU_DEP_2)
	v_add_co_ci_u32_e64 v4, s2, s5, v4, s2
	global_load_b64 v[3:4], v[3:4], off
.LBB0_18:
	s_wait_alu 0xfffe
	s_or_b32 exec_lo, exec_lo, s3
	v_dual_mov_b32 v17, 0 :: v_dual_add_nc_u32 v24, 60, v30
	v_dual_mov_b32 v15, 0 :: v_dual_mov_b32 v14, 0
	s_and_saveexec_b32 s3, s11
	s_cbranch_execz .LBB0_20
; %bb.19:
	s_delay_alu instid0(VALU_DEP_2) | instskip(SKIP_1) | instid1(VALU_DEP_2)
	v_mul_lo_u32 v14, s8, v24
	v_mov_b32_e32 v15, 0
	v_add3_u32 v14, s10, v7, v14
	s_delay_alu instid0(VALU_DEP_1) | instskip(NEXT) | instid1(VALU_DEP_1)
	v_lshlrev_b64_e32 v[14:15], 3, v[14:15]
	v_add_co_u32 v14, s2, s4, v14
	s_wait_alu 0xf1ff
	s_delay_alu instid0(VALU_DEP_2)
	v_add_co_ci_u32_e64 v15, s2, s5, v15, s2
	global_load_b64 v[14:15], v[14:15], off
.LBB0_20:
	s_wait_alu 0xfffe
	s_or_b32 exec_lo, exec_lo, s3
	v_mov_b32_e32 v16, 0
	s_and_saveexec_b32 s3, s11
	s_cbranch_execz .LBB0_22
; %bb.21:
	v_dual_mov_b32 v17, 0 :: v_dual_add_nc_u32 v16, 0x64, v30
	s_delay_alu instid0(VALU_DEP_1) | instskip(NEXT) | instid1(VALU_DEP_1)
	v_mul_lo_u32 v16, s8, v16
	v_add3_u32 v16, s10, v7, v16
	s_delay_alu instid0(VALU_DEP_1) | instskip(NEXT) | instid1(VALU_DEP_1)
	v_lshlrev_b64_e32 v[16:17], 3, v[16:17]
	v_add_co_u32 v16, s2, s4, v16
	s_wait_alu 0xf1ff
	s_delay_alu instid0(VALU_DEP_2)
	v_add_co_ci_u32_e64 v17, s2, s5, v17, s2
	global_load_b64 v[16:17], v[16:17], off
.LBB0_22:
	s_wait_alu 0xfffe
	s_or_b32 exec_lo, exec_lo, s3
	s_load_b64 s[6:7], s[0:1], 0x0
	v_dual_mov_b32 v21, 0 :: v_dual_mov_b32 v22, 0
	v_mov_b32_e32 v23, 0
	s_and_saveexec_b32 s3, s11
	s_cbranch_execz .LBB0_24
; %bb.23:
	v_dual_mov_b32 v23, 0 :: v_dual_add_nc_u32 v20, 0x8c, v30
	s_delay_alu instid0(VALU_DEP_1) | instskip(NEXT) | instid1(VALU_DEP_1)
	v_mul_lo_u32 v20, s8, v20
	v_add3_u32 v22, s10, v7, v20
	s_delay_alu instid0(VALU_DEP_1) | instskip(NEXT) | instid1(VALU_DEP_1)
	v_lshlrev_b64_e32 v[22:23], 3, v[22:23]
	v_add_co_u32 v22, s2, s4, v22
	s_wait_alu 0xf1ff
	s_delay_alu instid0(VALU_DEP_2)
	v_add_co_ci_u32_e64 v23, s2, s5, v23, s2
	global_load_b64 v[22:23], v[22:23], off
.LBB0_24:
	s_wait_alu 0xfffe
	s_or_b32 exec_lo, exec_lo, s3
	v_mov_b32_e32 v20, 0
	s_and_saveexec_b32 s3, s11
	s_cbranch_execz .LBB0_26
; %bb.25:
	v_dual_mov_b32 v21, 0 :: v_dual_add_nc_u32 v20, 0xb4, v30
	s_delay_alu instid0(VALU_DEP_1) | instskip(NEXT) | instid1(VALU_DEP_1)
	v_mul_lo_u32 v20, s8, v20
	v_add3_u32 v20, s10, v7, v20
	s_delay_alu instid0(VALU_DEP_1) | instskip(NEXT) | instid1(VALU_DEP_1)
	v_lshlrev_b64_e32 v[20:21], 3, v[20:21]
	v_add_co_u32 v20, s2, s4, v20
	s_wait_alu 0xf1ff
	s_delay_alu instid0(VALU_DEP_2)
	v_add_co_ci_u32_e64 v21, s2, s5, v21, s2
	global_load_b64 v[20:21], v[20:21], off
.LBB0_26:
	s_wait_alu 0xfffe
	s_or_b32 exec_lo, exec_lo, s3
	s_wait_loadcnt 0x0
	v_dual_add_f32 v26, v12, v10 :: v_dual_add_f32 v27, v1, v8
	v_dual_sub_f32 v31, v9, v19 :: v_dual_sub_f32 v34, v18, v10
	v_dual_sub_f32 v32, v13, v11 :: v_dual_sub_f32 v33, v8, v12
	s_delay_alu instid0(VALU_DEP_3) | instskip(SKIP_3) | instid1(VALU_DEP_4)
	v_fma_f32 v26, -0.5, v26, v1
	v_add_f32_e32 v35, v8, v18
	v_add_f32_e32 v27, v27, v12
	v_sub_f32_e32 v36, v12, v8
	v_dual_add_f32 v38, v2, v9 :: v_dual_fmamk_f32 v37, v31, 0xbf737871, v26
	v_fmac_f32_e32 v26, 0x3f737871, v31
	v_fmac_f32_e32 v1, -0.5, v35
	v_add_f32_e32 v33, v33, v34
	v_sub_f32_e32 v34, v10, v18
	v_add_f32_e32 v27, v27, v10
	v_fmac_f32_e32 v37, 0xbf167918, v32
	v_fmamk_f32 v35, v32, 0x3f737871, v1
	v_dual_fmac_f32 v26, 0x3f167918, v32 :: v_dual_add_f32 v39, v13, v11
	v_dual_sub_f32 v10, v12, v10 :: v_dual_fmac_f32 v1, 0xbf737871, v32
	v_dual_add_f32 v32, v38, v13 :: v_dual_add_f32 v27, v27, v18
	s_delay_alu instid0(VALU_DEP_3)
	v_fmac_f32_e32 v26, 0x3e9e377a, v33
	v_dual_add_f32 v34, v36, v34 :: v_dual_fmac_f32 v37, 0x3e9e377a, v33
	v_sub_f32_e32 v8, v8, v18
	v_fma_f32 v36, -0.5, v39, v2
	v_add_f32_e32 v18, v32, v11
	v_add_f32_e32 v32, v9, v19
	v_dual_fmac_f32 v35, 0xbf167918, v31 :: v_dual_sub_f32 v12, v9, v13
	v_sub_f32_e32 v33, v19, v11
	v_fmac_f32_e32 v1, 0x3f167918, v31
	v_dual_fmamk_f32 v31, v8, 0x3f737871, v36 :: v_dual_add_f32 v18, v18, v19
	s_delay_alu instid0(VALU_DEP_4) | instskip(SKIP_3) | instid1(VALU_DEP_4)
	v_dual_fmac_f32 v35, 0x3e9e377a, v34 :: v_dual_fmac_f32 v2, -0.5, v32
	v_fmac_f32_e32 v36, 0xbf737871, v8
	v_add_f32_e32 v12, v12, v33
	v_sub_f32_e32 v9, v13, v9
	v_dual_sub_f32 v11, v11, v19 :: v_dual_fmamk_f32 v32, v10, 0xbf737871, v2
	v_fmac_f32_e32 v31, 0x3f167918, v10
	v_fmac_f32_e32 v36, 0xbf167918, v10
	;; [unrolled: 1-line block ×3, first 2 shown]
	s_delay_alu instid0(VALU_DEP_4)
	v_dual_add_f32 v9, v9, v11 :: v_dual_fmac_f32 v2, 0x3f737871, v10
	v_fmac_f32_e32 v32, 0x3f167918, v8
	v_fmac_f32_e32 v31, 0x3e9e377a, v12
	v_dual_add_f32 v11, v3, v14 :: v_dual_fmac_f32 v36, 0x3e9e377a, v12
	v_dual_sub_f32 v12, v17, v23 :: v_dual_add_f32 v13, v16, v22
	v_dual_sub_f32 v19, v15, v21 :: v_dual_sub_f32 v34, v20, v22
	s_delay_alu instid0(VALU_DEP_3) | instskip(SKIP_1) | instid1(VALU_DEP_4)
	v_add_f32_e32 v10, v11, v16
	v_add_f32_e32 v38, v14, v20
	v_fma_f32 v13, -0.5, v13, v3
	v_fmac_f32_e32 v2, 0xbf167918, v8
	v_dual_fmac_f32 v32, 0x3e9e377a, v9 :: v_dual_add_f32 v39, v17, v23
	s_delay_alu instid0(VALU_DEP_4) | instskip(NEXT) | instid1(VALU_DEP_4)
	v_fmac_f32_e32 v3, -0.5, v38
	v_fmamk_f32 v11, v19, 0xbf737871, v13
	s_delay_alu instid0(VALU_DEP_4) | instskip(SKIP_1) | instid1(VALU_DEP_2)
	v_dual_sub_f32 v33, v14, v16 :: v_dual_fmac_f32 v2, 0x3e9e377a, v9
	v_dual_add_f32 v8, v10, v22 :: v_dual_fmac_f32 v13, 0x3f737871, v19
	v_dual_fmac_f32 v11, 0xbf167918, v12 :: v_dual_add_f32 v10, v33, v34
	v_dual_fmamk_f32 v9, v12, 0x3f737871, v3 :: v_dual_sub_f32 v34, v22, v20
	s_delay_alu instid0(VALU_DEP_3) | instskip(SKIP_4) | instid1(VALU_DEP_4)
	v_dual_fmac_f32 v13, 0x3f167918, v12 :: v_dual_add_f32 v38, v4, v15
	v_sub_f32_e32 v33, v16, v14
	v_fmac_f32_e32 v3, 0xbf737871, v12
	v_sub_f32_e32 v14, v14, v20
	v_dual_add_f32 v8, v8, v20 :: v_dual_fmac_f32 v11, 0x3e9e377a, v10
	v_dual_add_f32 v12, v38, v17 :: v_dual_add_f32 v33, v33, v34
	v_fma_f32 v34, -0.5, v39, v4
	v_dual_fmac_f32 v9, 0xbf167918, v19 :: v_dual_sub_f32 v20, v16, v22
	v_dual_fmac_f32 v13, 0x3e9e377a, v10 :: v_dual_sub_f32 v22, v21, v23
	s_delay_alu instid0(VALU_DEP_4) | instskip(NEXT) | instid1(VALU_DEP_4)
	v_add_f32_e32 v10, v12, v23
	v_fmamk_f32 v12, v14, 0x3f737871, v34
	v_dual_sub_f32 v16, v15, v17 :: v_dual_fmac_f32 v3, 0x3f167918, v19
	v_add_f32_e32 v19, v15, v21
	s_delay_alu instid0(VALU_DEP_4)
	v_add_f32_e32 v10, v10, v21
	v_fmac_f32_e32 v9, 0x3e9e377a, v33
	v_fmac_f32_e32 v12, 0x3f167918, v20
	v_dual_fmac_f32 v34, 0xbf737871, v14 :: v_dual_sub_f32 v15, v17, v15
	v_dual_fmac_f32 v4, -0.5, v19 :: v_dual_add_f32 v19, v16, v22
	v_sub_f32_e32 v17, v23, v21
	v_mul_u32_u24_e32 v21, 0x190, v30
	v_lshlrev_b32_e32 v16, 2, v25
	s_delay_alu instid0(VALU_DEP_4) | instskip(NEXT) | instid1(VALU_DEP_4)
	v_fmamk_f32 v22, v20, 0xbf737871, v4
	v_dual_fmac_f32 v4, 0x3f737871, v20 :: v_dual_add_f32 v15, v15, v17
	v_dual_fmac_f32 v3, 0x3e9e377a, v33 :: v_dual_fmac_f32 v12, 0x3e9e377a, v19
	s_delay_alu instid0(VALU_DEP_4)
	v_add3_u32 v17, 0, v21, v16
	v_fmac_f32_e32 v34, 0xbf167918, v20
	v_fmac_f32_e32 v22, 0x3f167918, v14
	;; [unrolled: 1-line block ×3, first 2 shown]
	v_mul_lo_u16 v45, v24, 41
	v_add_nc_u32_e32 v20, 0x1c00, v17
	v_dual_fmac_f32 v34, 0x3e9e377a, v19 :: v_dual_add_nc_u32 v19, 64, v17
	v_add_nc_u32_e32 v21, 0x2000, v17
	ds_store_2addr_b32 v17, v27, v37 offset1:20
	ds_store_2addr_b32 v17, v35, v1 offset0:40 offset1:60
	ds_store_2addr_stride64_b32 v19, v26, v8 offset0:1 offset1:31
	ds_store_2addr_b32 v20, v11, v9 offset0:228 offset1:248
	ds_store_2addr_b32 v21, v3, v13 offset0:12 offset1:32
	v_mul_i32_i24_e32 v3, 0xfffffec0, v29
	v_fmac_f32_e32 v22, 0x3e9e377a, v15
	v_fmac_f32_e32 v4, 0x3e9e377a, v15
	v_mul_lo_u16 v8, v29, 52
	v_mad_i32_i24 v14, 0xfffffec0, v30, v17
	v_add3_u32 v15, 0x1f40, v17, v3
	v_mul_lo_u16 v3, v30, 52
	global_wb scope:SCOPE_SE
	s_wait_dscnt 0x0
	v_lshrrev_b16 v43, 8, v8
	s_wait_kmcnt 0x0
	s_barrier_signal -1
	s_barrier_wait -1
	v_lshrrev_b16 v41, 8, v3
	global_inv scope:SCOPE_SE
	ds_load_b32 v1, v14
	ds_load_b32 v13, v14 offset:3200
	ds_load_b32 v23, v14 offset:12800
	;; [unrolled: 1-line block ×7, first 2 shown]
	v_mul_lo_u16 v9, v41, 5
	ds_load_b32 v3, v15
	ds_load_b32 v42, v14 offset:14400
	global_wb scope:SCOPE_SE
	s_wait_dscnt 0x0
	s_barrier_signal -1
	s_barrier_wait -1
	v_sub_nc_u16 v8, v30, v9
	global_inv scope:SCOPE_SE
	ds_store_2addr_b32 v17, v18, v31 offset1:20
	ds_store_2addr_b32 v17, v32, v2 offset0:40 offset1:60
	v_mul_lo_u16 v2, v43, 5
	ds_store_2addr_stride64_b32 v19, v36, v10 offset0:1 offset1:31
	v_and_b32_e32 v44, 0xff, v8
	ds_store_2addr_b32 v20, v12, v22 offset0:228 offset1:248
	ds_store_2addr_b32 v21, v4, v34 offset0:12 offset1:32
	global_wb scope:SCOPE_SE
	s_wait_dscnt 0x0
	v_sub_nc_u16 v2, v29, v2
	s_barrier_signal -1
	v_lshlrev_b32_e32 v4, 5, v44
	s_barrier_wait -1
	global_inv scope:SCOPE_SE
	v_and_b32_e32 v2, 0xff, v2
	v_mul_lo_u16 v21, v29, 41
	global_load_b128 v[8:11], v4, s[6:7]
	v_lshrrev_b16 v45, 10, v45
	v_mul_lo_u16 v22, v28, 41
	v_lshlrev_b32_e32 v12, 5, v2
	s_clause 0x2
	global_load_b128 v[17:20], v4, s[6:7] offset:16
	global_load_b128 v[31:34], v12, s[6:7]
	global_load_b128 v[35:38], v12, s[6:7] offset:16
	v_lshrrev_b16 v49, 10, v21
	ds_load_b32 v51, v14
	ds_load_b32 v21, v14 offset:3200
	ds_load_b32 v52, v14 offset:6400
	;; [unrolled: 1-line block ×3, first 2 shown]
	v_mul_u32_u24_e32 v4, 0x50, v24
	v_mul_lo_u16 v12, v30, 21
	v_mul_lo_u16 v46, v6, 41
	v_lshrrev_b16 v22, 10, v22
	v_cmp_gt_u32_e64 s2, 0xc8, v0
	s_delay_alu instid0(VALU_DEP_4) | instskip(NEXT) | instid1(VALU_DEP_4)
	v_lshrrev_b16 v48, 9, v12
	v_lshrrev_b16 v46, 10, v46
	s_delay_alu instid0(VALU_DEP_4)
	v_mul_lo_u16 v50, v22, 25
	v_and_b32_e32 v22, 0xffff, v22
	s_wait_loadcnt_dscnt 0x302
	v_mul_f32_e32 v60, v21, v9
	v_mul_f32_e32 v9, v13, v9
	s_wait_dscnt 0x1
	v_mul_f32_e32 v61, v52, v11
	v_mul_f32_e32 v11, v39, v11
	v_add3_u32 v47, 0, v4, v16
	s_wait_loadcnt_dscnt 0x200
	v_mul_f32_e32 v62, v53, v18
	v_fmac_f32_e32 v60, v13, v8
	v_mul_f32_e32 v18, v26, v18
	v_fma_f32 v8, v21, v8, -v9
	v_dual_fmac_f32 v61, v39, v10 :: v_dual_and_b32 v4, 0xffff, v41
	v_fma_f32 v9, v52, v10, -v11
	s_delay_alu instid0(VALU_DEP_4) | instskip(SKIP_1) | instid1(VALU_DEP_4)
	v_fma_f32 v10, v53, v17, -v18
	v_and_b32_e32 v12, 0xffff, v43
	v_mad_u32_u24 v4, v4, 25, v44
	v_mul_lo_u16 v43, v49, 25
	v_mul_lo_u16 v41, v48, 25
	s_delay_alu instid0(VALU_DEP_4)
	v_mad_u32_u24 v2, v12, 25, v2
	ds_load_b32 v12, v14 offset:12800
	ds_load_b32 v44, v14 offset:11200
	;; [unrolled: 1-line block ×4, first 2 shown]
	ds_load_b32 v56, v15
	ds_load_b32 v57, v14 offset:14400
	v_mul_u32_u24_e32 v4, 0x50, v4
	global_wb scope:SCOPE_SE
	s_wait_loadcnt_dscnt 0x0
	v_mul_u32_u24_e32 v2, 0x50, v2
	s_barrier_signal -1
	s_barrier_wait -1
	v_add3_u32 v4, 0, v4, v16
	global_inv scope:SCOPE_SE
	v_add3_u32 v2, 0, v2, v16
	s_delay_alu instid0(VALU_DEP_1) | instskip(SKIP_4) | instid1(VALU_DEP_4)
	v_add_nc_u32_e32 v59, 0x200, v2
	v_mul_f32_e32 v63, v12, v20
	v_dual_mul_f32 v20, v23, v20 :: v_dual_mul_f32 v65, v54, v34
	v_mul_f32_e32 v34, v27, v34
	v_mul_f32_e32 v67, v57, v38
	v_fmac_f32_e32 v63, v23, v19
	s_delay_alu instid0(VALU_DEP_4)
	v_fma_f32 v11, v12, v19, -v20
	v_mul_f32_e32 v38, v42, v38
	v_mul_f32_e32 v64, v55, v32
	v_fma_f32 v13, v54, v33, -v34
	v_fmac_f32_e32 v67, v42, v37
	v_add_f32_e32 v39, v8, v11
	v_fma_f32 v18, v57, v37, -v38
	v_mul_f32_e32 v66, v44, v36
	v_dual_mul_f32 v36, v25, v36 :: v_dual_sub_f32 v37, v8, v9
	v_fmac_f32_e32 v62, v26, v17
	v_fmac_f32_e32 v65, v27, v33
	v_add_f32_e32 v33, v51, v8
	s_delay_alu instid0(VALU_DEP_4) | instskip(SKIP_3) | instid1(VALU_DEP_4)
	v_fma_f32 v17, v44, v35, -v36
	v_mul_f32_e32 v32, v40, v32
	v_dual_add_f32 v34, v9, v10 :: v_dual_sub_f32 v21, v8, v11
	v_sub_f32_e32 v23, v9, v10
	v_sub_f32_e32 v53, v13, v17
	s_delay_alu instid0(VALU_DEP_4) | instskip(SKIP_3) | instid1(VALU_DEP_4)
	v_fma_f32 v12, v55, v31, -v32
	v_dual_sub_f32 v73, v18, v17 :: v_dual_fmac_f32 v66, v25, v35
	v_sub_f32_e32 v38, v11, v10
	v_sub_f32_e32 v75, v17, v18
	v_add_f32_e32 v69, v56, v12
	v_sub_f32_e32 v52, v12, v18
	v_sub_f32_e32 v55, v67, v66
	;; [unrolled: 1-line block ×3, first 2 shown]
	v_dual_fmac_f32 v64, v40, v31 :: v_dual_sub_f32 v71, v65, v66
	v_add_f32_e32 v19, v1, v60
	v_dual_add_f32 v27, v60, v63 :: v_dual_add_nc_u32 v58, 0x200, v4
	v_sub_f32_e32 v25, v60, v61
	s_delay_alu instid0(VALU_DEP_4) | instskip(NEXT) | instid1(VALU_DEP_4)
	v_dual_add_f32 v57, v64, v67 :: v_dual_add_f32 v20, v61, v62
	v_add_f32_e32 v19, v19, v61
	v_dual_sub_f32 v26, v63, v62 :: v_dual_sub_f32 v31, v61, v60
	v_sub_f32_e32 v32, v62, v63
	v_sub_f32_e32 v72, v12, v13
	;; [unrolled: 1-line block ×3, first 2 shown]
	v_fma_f32 v20, -0.5, v20, v1
	v_fmac_f32_e32 v1, -0.5, v27
	v_dual_add_f32 v9, v33, v9 :: v_dual_add_f32 v42, v3, v64
	v_fma_f32 v27, -0.5, v34, v51
	v_add_f32_e32 v70, v13, v17
	v_sub_f32_e32 v36, v61, v62
	v_dual_sub_f32 v40, v10, v11 :: v_dual_add_f32 v25, v25, v26
	v_sub_f32_e32 v60, v65, v64
	v_dual_sub_f32 v68, v66, v67 :: v_dual_add_f32 v9, v9, v10
	v_dual_add_f32 v26, v31, v32 :: v_dual_add_f32 v31, v37, v38
	v_fmac_f32_e32 v51, -0.5, v39
	v_fmamk_f32 v10, v35, 0x3f737871, v27
	v_fmac_f32_e32 v27, 0xbf737871, v35
	v_fma_f32 v38, -0.5, v70, v56
	v_add_f32_e32 v32, v42, v65
	v_fmamk_f32 v42, v23, 0x3f737871, v1
	v_dual_fmac_f32 v1, 0xbf737871, v23 :: v_dual_add_f32 v44, v65, v66
	v_add_f32_e32 v37, v60, v68
	v_dual_sub_f32 v54, v64, v65 :: v_dual_add_f32 v19, v19, v62
	v_add_f32_e32 v9, v9, v11
	s_delay_alu instid0(VALU_DEP_4)
	v_fma_f32 v33, -0.5, v44, v3
	v_dual_fmac_f32 v3, -0.5, v57 :: v_dual_sub_f32 v64, v64, v67
	v_fmamk_f32 v44, v36, 0xbf737871, v51
	v_dual_fmac_f32 v51, 0x3f737871, v36 :: v_dual_add_f32 v74, v12, v18
	v_sub_f32_e32 v12, v13, v12
	v_dual_add_f32 v13, v69, v13 :: v_dual_add_f32 v34, v54, v55
	v_fmac_f32_e32 v1, 0x3f167918, v21
	v_fmamk_f32 v54, v52, 0xbf737871, v33
	v_fmac_f32_e32 v33, 0x3f737871, v52
	v_add_f32_e32 v39, v72, v73
	v_add_f32_e32 v8, v8, v40
	v_fmamk_f32 v57, v64, 0x3f737871, v38
	v_dual_add_f32 v32, v32, v66 :: v_dual_fmac_f32 v51, 0xbf167918, v35
	v_fmamk_f32 v40, v21, 0xbf737871, v20
	v_add_f32_e32 v13, v13, v17
	v_dual_fmac_f32 v20, 0x3f737871, v21 :: v_dual_fmamk_f32 v55, v53, 0x3f737871, v3
	v_dual_fmac_f32 v3, 0xbf737871, v53 :: v_dual_fmac_f32 v56, -0.5, v74
	v_add_f32_e32 v11, v32, v67
	s_delay_alu instid0(VALU_DEP_3)
	v_dual_fmac_f32 v40, 0xbf167918, v23 :: v_dual_fmac_f32 v55, 0xbf167918, v52
	v_dual_fmac_f32 v42, 0xbf167918, v21 :: v_dual_add_f32 v13, v13, v18
	v_dual_fmac_f32 v20, 0x3f167918, v23 :: v_dual_fmac_f32 v33, 0x3f167918, v53
	v_fmac_f32_e32 v54, 0xbf167918, v53
	v_dual_fmac_f32 v44, 0x3f167918, v35 :: v_dual_fmac_f32 v3, 0x3f167918, v52
	v_dual_add_f32 v12, v12, v75 :: v_dual_fmac_f32 v27, 0xbf167918, v36
	v_dual_add_f32 v17, v19, v63 :: v_dual_fmac_f32 v40, 0x3e9e377a, v25
	v_fmac_f32_e32 v1, 0x3e9e377a, v26
	v_dual_fmac_f32 v42, 0x3e9e377a, v26 :: v_dual_fmac_f32 v51, 0x3e9e377a, v8
	s_delay_alu instid0(VALU_DEP_4)
	v_dual_fmac_f32 v20, 0x3e9e377a, v25 :: v_dual_fmac_f32 v27, 0x3e9e377a, v31
	v_dual_fmac_f32 v54, 0x3e9e377a, v34 :: v_dual_fmac_f32 v55, 0x3e9e377a, v37
	;; [unrolled: 1-line block ×3, first 2 shown]
	v_fmac_f32_e32 v33, 0x3e9e377a, v34
	ds_store_2addr_b32 v4, v17, v40 offset1:100
	ds_store_2addr_b32 v58, v42, v1 offset0:72 offset1:172
	ds_store_b32 v4, v20 offset:1600
	ds_store_2addr_b32 v2, v11, v54 offset1:100
	ds_store_2addr_b32 v59, v55, v3 offset0:72 offset1:172
	ds_store_b32 v2, v33 offset:1600
	v_mul_lo_u16 v1, v45, 25
	v_sub_nc_u16 v3, v29, v43
	v_fmac_f32_e32 v57, 0x3f167918, v71
	global_wb scope:SCOPE_SE
	s_wait_dscnt 0x0
	s_barrier_signal -1
	v_sub_nc_u16 v1, v24, v1
	v_and_b32_e32 v24, 0xff, v3
	s_barrier_wait -1
	global_inv scope:SCOPE_SE
	v_fmac_f32_e32 v38, 0xbf737871, v64
	v_sub_nc_u16 v23, v30, v41
	v_lshlrev_b32_e32 v3, 3, v24
	v_fmac_f32_e32 v10, 0x3f167918, v36
	v_and_b32_e32 v26, 0xff, v1
	v_and_b32_e32 v32, 0xffff, v45
	v_add_nc_u32_e32 v55, 0xc80, v14
	s_delay_alu instid0(VALU_DEP_4)
	v_fmac_f32_e32 v10, 0x3e9e377a, v31
	ds_load_b32 v31, v14
	ds_load_b32 v33, v14 offset:3200
	ds_load_b32 v34, v15
	ds_load_b32 v37, v47
	ds_load_b32 v20, v14 offset:9600
	ds_load_b32 v19, v14 offset:11200
	;; [unrolled: 1-line block ×6, first 2 shown]
	v_fmamk_f32 v60, v71, 0xbf737871, v56
	v_fmac_f32_e32 v56, 0x3f737871, v71
	v_fmac_f32_e32 v38, 0xbf167918, v71
	global_wb scope:SCOPE_SE
	s_wait_dscnt 0x0
	s_barrier_signal -1
	v_fmac_f32_e32 v60, 0x3f167918, v64
	v_fmac_f32_e32 v56, 0xbf167918, v64
	;; [unrolled: 1-line block ×4, first 2 shown]
	s_barrier_wait -1
	v_fmac_f32_e32 v60, 0x3e9e377a, v12
	v_fmac_f32_e32 v56, 0x3e9e377a, v12
	global_inv scope:SCOPE_SE
	ds_store_2addr_b32 v4, v9, v10 offset1:100
	ds_store_2addr_b32 v58, v44, v51 offset0:72 offset1:172
	ds_store_b32 v4, v27 offset:1600
	ds_store_2addr_b32 v2, v13, v57 offset1:100
	ds_store_2addr_b32 v59, v60, v56 offset0:72 offset1:172
	ds_store_b32 v2, v38 offset:1600
	v_mul_lo_u16 v2, v46, 25
	v_sub_nc_u16 v4, v28, v50
	v_lshlrev_b32_e32 v10, 3, v26
	global_wb scope:SCOPE_SE
	s_wait_dscnt 0x0
	s_barrier_signal -1
	v_sub_nc_u16 v2, v6, v2
	v_and_b32_e32 v6, 0xff, v23
	v_and_b32_e32 v25, 0xff, v4
	s_barrier_wait -1
	global_inv scope:SCOPE_SE
	v_and_b32_e32 v27, 0xff, v2
	v_lshlrev_b32_e32 v1, 3, v6
	v_lshlrev_b32_e32 v6, 3, v25
	s_delay_alu instid0(VALU_DEP_3)
	v_lshlrev_b32_e32 v12, 3, v27
	s_clause 0x4
	global_load_b64 v[1:2], v1, s[6:7] offset:160
	global_load_b64 v[3:4], v3, s[6:7] offset:160
	;; [unrolled: 1-line block ×5, first 2 shown]
	v_mad_u16 v6, v48, 50, v23
	v_and_b32_e32 v23, 0xffff, v49
	ds_load_b32 v36, v14 offset:8000
	ds_load_b32 v39, v14 offset:9600
	ds_load_b32 v44, v14 offset:11200
	ds_load_b32 v48, v14 offset:12800
	ds_load_b32 v49, v14 offset:14400
	v_and_b32_e32 v6, 0xff, v6
	s_delay_alu instid0(VALU_DEP_1)
	v_mul_u32_u24_e32 v6, 0x50, v6
	s_wait_loadcnt_dscnt 0x202
	v_dual_mul_f32 v41, v39, v4 :: v_dual_mul_f32 v42, v44, v9
	s_wait_loadcnt_dscnt 0x101
	v_mul_f32_e32 v43, v48, v11
	s_wait_loadcnt_dscnt 0x0
	v_mul_f32_e32 v45, v49, v13
	v_dual_fmac_f32 v41, v20, v3 :: v_dual_fmac_f32 v42, v19, v8
	v_mad_u32_u24 v23, v23, 50, v24
	v_mad_u32_u24 v24, v32, 50, v26
	v_mul_f32_e32 v32, v36, v2
	v_and_b32_e32 v35, 0xffff, v46
	v_mad_u32_u24 v22, v22, 50, v25
	v_fmac_f32_e32 v43, v18, v10
	v_fmac_f32_e32 v45, v17, v12
	;; [unrolled: 1-line block ×3, first 2 shown]
	v_mad_u32_u24 v25, v35, 50, v27
	v_mul_u32_u24_e32 v23, 0x50, v23
	v_sub_f32_e32 v41, v34, v41
	v_mul_u32_u24_e32 v22, 0x50, v22
	v_sub_f32_e32 v46, v31, v32
	v_sub_f32_e32 v42, v33, v42
	;; [unrolled: 1-line block ×3, first 2 shown]
	v_mul_u32_u24_e32 v26, 0x50, v24
	v_mul_u32_u24_e32 v27, 0x50, v25
	v_add3_u32 v25, 0, v6, v16
	v_sub_f32_e32 v32, v40, v45
	v_fma_f32 v45, v31, 2.0, -v46
	v_add3_u32 v24, 0, v23, v16
	v_fma_f32 v34, v34, 2.0, -v41
	v_add3_u32 v23, 0, v22, v16
	v_fma_f32 v33, v33, 2.0, -v42
	v_fma_f32 v37, v37, 2.0, -v43
	v_add3_u32 v22, 0, v26, v16
	v_add3_u32 v6, 0, v27, v16
	ds_load_b32 v26, v14
	ds_load_b32 v16, v14 offset:3200
	ds_load_b32 v38, v15
	ds_load_b32 v27, v47
	ds_load_b32 v35, v14 offset:6400
	global_wb scope:SCOPE_SE
	s_wait_dscnt 0x0
	s_barrier_signal -1
	s_barrier_wait -1
	global_inv scope:SCOPE_SE
	v_fma_f32 v31, v40, 2.0, -v32
	ds_store_b32 v25, v45
	ds_store_b32 v25, v46 offset:2000
	ds_store_b32 v24, v34
	ds_store_b32 v24, v41 offset:2000
	;; [unrolled: 2-line block ×5, first 2 shown]
	global_wb scope:SCOPE_SE
	s_wait_dscnt 0x0
	s_barrier_signal -1
	s_barrier_wait -1
	global_inv scope:SCOPE_SE
	ds_load_b32 v37, v14
	ds_load_b32 v41, v14 offset:4000
	ds_load_b32 v40, v15
	ds_load_b32 v45, v14 offset:13600
	ds_load_b32 v43, v14 offset:12000
	ds_load_b32 v46, v14 offset:9600
	ds_load_b32 v42, v14 offset:8000
	ds_load_b32 v47, v14 offset:5600
                                        ; implicit-def: $vgpr33
                                        ; implicit-def: $vgpr34
	s_and_saveexec_b32 s3, s2
	s_cbranch_execz .LBB0_28
; %bb.27:
	ds_load_b32 v32, v14 offset:7200
	ds_load_b32 v33, v14 offset:11200
	ds_load_b32 v31, v55
	ds_load_b32 v34, v14 offset:15200
.LBB0_28:
	s_wait_alu 0xfffe
	s_or_b32 exec_lo, exec_lo, s3
	v_dual_mul_f32 v2, v21, v2 :: v_dual_mul_f32 v9, v19, v9
	v_dual_mul_f32 v4, v20, v4 :: v_dual_mul_f32 v11, v18, v11
	global_wb scope:SCOPE_SE
	s_wait_dscnt 0x0
	v_fma_f32 v1, v36, v1, -v2
	s_barrier_signal -1
	v_fma_f32 v2, v39, v3, -v4
	v_mul_f32_e32 v13, v17, v13
	v_fma_f32 v3, v44, v8, -v9
	v_fma_f32 v4, v48, v10, -v11
	v_sub_f32_e32 v1, v26, v1
	v_sub_f32_e32 v2, v38, v2
	v_fma_f32 v8, v49, v12, -v13
	s_delay_alu instid0(VALU_DEP_4) | instskip(SKIP_1) | instid1(VALU_DEP_3)
	v_dual_sub_f32 v3, v16, v3 :: v_dual_sub_f32 v4, v27, v4
	s_barrier_wait -1
	v_fma_f32 v9, v38, 2.0, -v2
	s_delay_alu instid0(VALU_DEP_3)
	v_sub_f32_e32 v36, v35, v8
	v_fma_f32 v8, v26, 2.0, -v1
	v_fma_f32 v10, v16, 2.0, -v3
	;; [unrolled: 1-line block ×3, first 2 shown]
	global_inv scope:SCOPE_SE
	v_fma_f32 v35, v35, 2.0, -v36
	ds_store_b32 v25, v8
	ds_store_b32 v25, v1 offset:2000
	ds_store_b32 v24, v9
	ds_store_b32 v24, v2 offset:2000
	ds_store_b32 v23, v10
	ds_store_b32 v23, v3 offset:2000
	ds_store_b32 v22, v11
	ds_store_b32 v22, v4 offset:2000
	ds_store_b32 v6, v35
	ds_store_b32 v6, v36 offset:2000
	global_wb scope:SCOPE_SE
	s_wait_dscnt 0x0
	s_barrier_signal -1
	s_barrier_wait -1
	global_inv scope:SCOPE_SE
	ds_load_b32 v44, v14
	ds_load_b32 v49, v14 offset:4000
	ds_load_b32 v48, v15
	ds_load_b32 v52, v14 offset:13600
	ds_load_b32 v50, v14 offset:12000
	;; [unrolled: 1-line block ×5, first 2 shown]
                                        ; implicit-def: $vgpr38
                                        ; implicit-def: $vgpr39
	s_and_saveexec_b32 s3, s2
	s_cbranch_execz .LBB0_30
; %bb.29:
	ds_load_b32 v36, v14 offset:7200
	ds_load_b32 v38, v14 offset:11200
	ds_load_b32 v35, v55
	ds_load_b32 v39, v14 offset:15200
.LBB0_30:
	s_wait_alu 0xfffe
	s_or_b32 exec_lo, exec_lo, s3
	v_add_nc_u32_e32 v1, -10, v30
	s_delay_alu instid0(VALU_DEP_1) | instskip(SKIP_2) | instid1(VALU_DEP_2)
	v_cndmask_b32_e64 v1, v1, v28, s2
	v_mov_b32_e32 v27, 0
	s_load_b64 s[2:3], s[0:1], 0x8
	v_add_nc_u32_e32 v4, 50, v1
	v_add_nc_u32_e32 v6, 0x64, v1
	v_mul_i32_i24_e32 v26, 3, v1
	v_mul_lo_u32 v3, v5, v1
	v_add_nc_u32_e32 v8, 0x96, v1
	v_mul_lo_u32 v4, v5, v4
	v_mul_lo_u32 v6, v5, v6
	v_lshlrev_b64_e32 v[1:2], 3, v[26:27]
	s_delay_alu instid0(VALU_DEP_4)
	v_mul_lo_u32 v8, v5, v8
	v_and_b32_e32 v9, 0xff, v3
	v_lshrrev_b32_e32 v3, 5, v3
	v_and_b32_e32 v11, 0xff, v4
	v_add_co_u32 v1, s0, s6, v1
	v_lshrrev_b32_e32 v12, 5, v4
	v_and_b32_e32 v13, 0xff, v6
	v_add_co_ci_u32_e64 v2, s0, s7, v2, s0
	v_lshlrev_b32_e32 v9, 3, v9
	v_lshrrev_b32_e32 v6, 5, v6
	v_and_b32_e32 v14, 0xff, v8
	v_lshrrev_b32_e32 v8, 5, v8
	v_and_b32_e32 v10, 0x7f8, v3
	v_lshlrev_b32_e32 v11, 3, v11
	v_and_b32_e32 v12, 0x7f8, v12
	v_lshlrev_b32_e32 v13, 3, v13
	s_clause 0x1
	global_load_b64 v[24:25], v[1:2], off offset:376
	global_load_b128 v[1:4], v[1:2], off offset:360
	v_and_b32_e32 v6, 0x7f8, v6
	v_lshlrev_b32_e32 v26, 3, v14
	v_and_b32_e32 v55, 0x7f8, v8
	s_wait_kmcnt 0x0
	s_clause 0x7
	global_load_b64 v[20:21], v9, s[2:3]
	global_load_b64 v[22:23], v10, s[2:3] offset:2048
	global_load_b64 v[16:17], v11, s[2:3]
	global_load_b64 v[18:19], v12, s[2:3] offset:2048
	;; [unrolled: 2-line block ×4, first 2 shown]
	v_add_nc_u32_e32 v6, s10, v7
	s_and_saveexec_b32 s1, s11
	s_cbranch_execz .LBB0_32
; %bb.31:
	v_subrev_nc_u32_e32 v7, 30, v30
	v_cmp_gt_u32_e64 s0, 0x258, v0
	v_subrev_nc_u32_e32 v55, 50, v30
	s_wait_alu 0xf1ff
	s_delay_alu instid0(VALU_DEP_2) | instskip(SKIP_1) | instid1(VALU_DEP_2)
	v_cndmask_b32_e64 v7, v7, v29, s0
	v_cmp_gt_u32_e64 s0, 0x3e8, v0
	v_mul_i32_i24_e32 v26, 3, v7
	v_add_nc_u32_e32 v57, 0x96, v7
	v_add_nc_u32_e32 v59, 50, v7
	;; [unrolled: 1-line block ×3, first 2 shown]
	s_wait_alu 0xf1ff
	v_cndmask_b32_e64 v30, v55, v30, s0
	v_lshlrev_b64_e32 v[55:56], 3, v[26:27]
	v_mul_lo_u32 v26, v5, v57
	v_mul_lo_u32 v59, v5, v59
	;; [unrolled: 1-line block ×4, first 2 shown]
	v_add_co_u32 v55, s0, s6, v55
	s_wait_alu 0xf1ff
	v_add_co_ci_u32_e64 v56, s0, s7, v56, s0
	v_and_b32_e32 v58, 0xff, v26
	v_and_b32_e32 v61, 0xff, v59
	v_lshrrev_b32_e32 v26, 5, v26
	v_and_b32_e32 v60, 0xff, v57
	v_lshrrev_b32_e32 v57, 5, v57
	v_lshlrev_b32_e32 v62, 3, v58
	v_lshlrev_b32_e32 v83, 3, v61
	v_mul_lo_u32 v61, v5, v30
	v_and_b32_e32 v26, 0x7f8, v26
	v_lshlrev_b32_e32 v60, 3, v60
	v_and_b32_e32 v71, 0x7f8, v57
	s_clause 0x1
	global_load_b64 v[63:64], v[55:56], off offset:376
	global_load_b128 v[55:58], v[55:56], off offset:360
	s_clause 0x3
	global_load_b64 v[65:66], v62, s[2:3]
	global_load_b64 v[67:68], v26, s[2:3] offset:2048
	global_load_b64 v[69:70], v60, s[2:3]
	global_load_b64 v[71:72], v71, s[2:3] offset:2048
	v_mul_i32_i24_e32 v26, 3, v30
	v_add_nc_u32_e32 v62, 0x96, v30
	v_and_b32_e32 v73, 0xff, v7
	v_lshrrev_b32_e32 v84, 5, v59
	v_lshrrev_b32_e32 v7, 5, v7
	v_lshlrev_b64_e32 v[59:60], 3, v[26:27]
	v_mul_lo_u32 v26, v5, v62
	v_and_b32_e32 v62, 0xff, v61
	v_lshrrev_b32_e32 v61, 5, v61
	v_lshlrev_b32_e32 v73, 3, v73
	v_and_b32_e32 v7, 0x7f8, v7
	s_clause 0x1
	global_load_b64 v[73:74], v73, s[2:3]
	global_load_b64 v[75:76], v7, s[2:3] offset:2048
	v_lshlrev_b32_e32 v62, 3, v62
	v_and_b32_e32 v61, 0x7f8, v61
	s_clause 0x1
	global_load_b64 v[77:78], v62, s[2:3]
	global_load_b64 v[79:80], v61, s[2:3] offset:2048
	v_add_nc_u32_e32 v85, 0x64, v30
	v_add_nc_u32_e32 v7, 50, v30
	v_and_b32_e32 v87, 0xff, v26
	v_add_co_u32 v81, s0, s6, v59
	s_delay_alu instid0(VALU_DEP_4) | instskip(NEXT) | instid1(VALU_DEP_4)
	v_mul_lo_u32 v88, v5, v85
	v_mul_lo_u32 v5, v5, v7
	v_lshrrev_b32_e32 v26, 5, v26
	s_wait_alu 0xf1ff
	v_add_co_ci_u32_e64 v82, s0, s7, v60, s0
	v_lshlrev_b32_e32 v7, 3, v87
	v_and_b32_e32 v86, 0x7f8, v84
	v_and_b32_e32 v26, 0x7f8, v26
	;; [unrolled: 1-line block ×3, first 2 shown]
	v_lshrrev_b32_e32 v88, 5, v88
	v_and_b32_e32 v89, 0xff, v5
	v_lshrrev_b32_e32 v5, 5, v5
	global_load_b128 v[59:62], v[81:82], off offset:360
	global_load_b64 v[83:84], v83, s[2:3]
	global_load_b64 v[81:82], v[81:82], off offset:376
	global_load_b64 v[85:86], v86, s[2:3] offset:2048
	v_lshlrev_b32_e32 v91, 3, v87
	v_and_b32_e32 v93, 0x7f8, v88
	v_cmp_lt_u32_e64 s0, 0x257, v0
	v_and_b32_e32 v5, 0x7f8, v5
	s_wait_loadcnt 0x4
	v_mul_f32_e32 v113, v78, v80
	v_dual_mul_f32 v80, v77, v80 :: v_dual_lshlrev_b32 v95, 3, v89
	s_clause 0x5
	global_load_b64 v[87:88], v7, s[2:3]
	global_load_b64 v[89:90], v26, s[2:3] offset:2048
	global_load_b64 v[91:92], v91, s[2:3]
	global_load_b64 v[93:94], v93, s[2:3] offset:2048
	;; [unrolled: 2-line block ×3, first 2 shown]
	s_wait_alu 0xf1ff
	v_cndmask_b32_e64 v5, 0, 0x96, s0
	v_cmp_lt_u32_e64 s0, 0x3e7, v0
	s_delay_alu instid0(VALU_DEP_2) | instskip(SKIP_1) | instid1(VALU_DEP_2)
	v_dual_fmac_f32 v80, v79, v78 :: v_dual_add_nc_u32 v5, v29, v5
	s_wait_alu 0xf1ff
	v_cndmask_b32_e64 v7, 0, 0xc8, s0
	s_delay_alu instid0(VALU_DEP_2) | instskip(NEXT) | instid1(VALU_DEP_2)
	v_add_nc_u32_e32 v26, 50, v5
	v_add_nc_u32_e32 v7, v30, v7
	;; [unrolled: 1-line block ×3, first 2 shown]
	s_delay_alu instid0(VALU_DEP_2)
	v_mad_co_u64_u32 v[29:30], null, s8, v5, v[6:7]
	v_add_nc_u32_e32 v5, 0x96, v5
	v_mad_co_u64_u32 v[99:100], null, s8, v7, v[6:7]
	v_add_nc_u32_e32 v107, 50, v7
	v_add_nc_u32_e32 v109, 0x64, v7
	v_dual_mov_b32 v100, v27 :: v_dual_add_nc_u32 v7, 0x96, v7
	v_mov_b32_e32 v30, v27
	s_delay_alu instid0(VALU_DEP_1) | instskip(NEXT) | instid1(VALU_DEP_1)
	v_lshlrev_b64_e32 v[29:30], 3, v[29:30]
	v_add_co_u32 v29, s0, s4, v29
	s_wait_alu 0xf1ff
	s_delay_alu instid0(VALU_DEP_2)
	v_add_co_ci_u32_e64 v30, s0, s5, v30, s0
	s_wait_loadcnt 0x2
	v_mul_f32_e32 v78, v91, v94
	v_mad_co_u64_u32 v[101:102], null, s8, v26, v[6:7]
	v_mad_co_u64_u32 v[103:104], null, s8, v103, v[6:7]
	;; [unrolled: 1-line block ×6, first 2 shown]
	v_mov_b32_e32 v102, v27
	v_mov_b32_e32 v104, v27
	v_mov_b32_e32 v106, v27
	v_mov_b32_e32 v108, v27
	v_mov_b32_e32 v110, v27
	v_mov_b32_e32 v112, v27
	v_lshlrev_b64_e32 v[26:27], 3, v[99:100]
	v_lshlrev_b64_e32 v[99:100], 3, v[101:102]
	;; [unrolled: 1-line block ×7, first 2 shown]
	v_mul_f32_e32 v5, v46, v58
	s_wait_dscnt 0x0
	v_mul_f32_e32 v7, v53, v56
	v_dual_mul_f32 v111, v52, v64 :: v_dual_mul_f32 v58, v54, v58
	v_mul_f32_e32 v56, v47, v56
	v_mul_f32_e32 v64, v45, v64
	s_delay_alu instid0(VALU_DEP_4) | instskip(NEXT) | instid1(VALU_DEP_4)
	v_dual_mul_f32 v112, v74, v76 :: v_dual_fmac_f32 v7, v47, v55
	v_dual_fmac_f32 v111, v45, v63 :: v_dual_fmac_f32 v58, v46, v57
	s_delay_alu instid0(VALU_DEP_4) | instskip(NEXT) | instid1(VALU_DEP_4)
	v_fma_f32 v45, v53, v55, -v56
	v_fma_f32 v46, v52, v63, -v64
	v_dual_mul_f32 v52, v49, v60 :: v_dual_mul_f32 v53, v50, v82
	v_mul_f32_e32 v76, v73, v76
	v_fma_f32 v5, v54, v57, -v5
	v_mul_f32_e32 v47, v42, v62
	v_dual_mul_f32 v54, v51, v62 :: v_dual_mul_f32 v55, v41, v60
	v_mul_f32_e32 v56, v43, v82
	v_mul_f32_e32 v60, v65, v68
	v_fma_f32 v62, v73, v75, -v112
	v_mul_f32_e32 v63, v70, v72
	v_mul_f32_e32 v64, v69, v72
	;; [unrolled: 1-line block ×3, first 2 shown]
	v_fma_f32 v73, v77, v79, -v113
	v_dual_mul_f32 v77, v92, v94 :: v_dual_fmac_f32 v52, v41, v59
	v_dual_fmac_f32 v53, v43, v81 :: v_dual_sub_f32 v46, v45, v46
	s_delay_alu instid0(VALU_DEP_4)
	v_dual_sub_f32 v41, v7, v111 :: v_dual_fmac_f32 v72, v84, v85
	v_dual_sub_f32 v43, v40, v58 :: v_dual_fmac_f32 v60, v66, v67
	v_dual_fmac_f32 v76, v74, v75 :: v_dual_mul_f32 v75, v87, v90
	s_wait_loadcnt 0x0
	v_dual_mul_f32 v79, v96, v98 :: v_dual_fmac_f32 v54, v42, v61
	v_dual_mul_f32 v82, v95, v98 :: v_dual_sub_f32 v5, v48, v5
	v_fma_f32 v47, v51, v61, -v47
	v_dual_fmac_f32 v78, v92, v93 :: v_dual_add_f32 v61, v43, v46
	v_fma_f32 v45, v45, 2.0, -v46
	v_fma_f32 v46, v40, 2.0, -v43
	;; [unrolled: 1-line block ×3, first 2 shown]
	v_mul_f32_e32 v57, v66, v68
	v_fma_f32 v42, v49, v59, -v55
	v_fma_f32 v49, v50, v81, -v56
	v_dual_fmac_f32 v64, v70, v71 :: v_dual_fmac_f32 v75, v88, v89
	v_sub_f32_e32 v7, v46, v7
	v_sub_f32_e32 v59, v5, v41
	v_fma_f32 v50, v65, v67, -v57
	v_fmac_f32_e32 v82, v96, v97
	v_fma_f32 v48, v48, 2.0, -v5
	v_sub_f32_e32 v47, v44, v47
	v_dual_sub_f32 v41, v52, v53 :: v_dual_mul_f32 v40, v59, v60
	v_sub_f32_e32 v53, v37, v54
	v_dual_sub_f32 v49, v42, v49 :: v_dual_mul_f32 v54, v61, v60
	v_fma_f32 v51, v69, v71, -v63
	s_delay_alu instid0(VALU_DEP_4)
	v_fmac_f32_e32 v40, v61, v50
	v_fma_f32 v60, v43, 2.0, -v61
	v_sub_f32_e32 v63, v47, v41
	v_add_f32_e32 v65, v53, v49
	v_fma_f32 v66, v44, 2.0, -v47
	v_fma_f32 v43, v42, 2.0, -v49
	;; [unrolled: 1-line block ×4, first 2 shown]
	v_fma_f32 v41, v59, v50, -v54
	v_mul_f32_e32 v50, v7, v64
	v_fma_f32 v5, v5, 2.0, -v59
	v_sub_f32_e32 v45, v48, v45
	v_add_co_u32 v26, s0, s4, v26
	s_wait_alu 0xf1ff
	v_add_co_ci_u32_e64 v27, s0, s5, v27, s0
	v_mul_f32_e32 v44, v5, v72
	v_mul_f32_e32 v68, v84, v86
	v_mul_f32_e32 v74, v88, v90
	v_mul_f32_e32 v42, v45, v64
	v_dual_sub_f32 v64, v66, v43 :: v_dual_sub_f32 v49, v37, v49
	v_add_co_u32 v99, s0, s4, v99
	s_wait_alu 0xf1ff
	v_add_co_ci_u32_e64 v100, s0, s5, v100, s0
	v_add_co_u32 v101, s0, s4, v101
	v_fma_f32 v55, v83, v85, -v68
	v_fma_f32 v56, v87, v89, -v74
	v_mul_f32_e32 v52, v60, v72
	v_fma_f32 v61, v46, 2.0, -v7
	v_mul_f32_e32 v46, v63, v75
	v_fma_f32 v68, v53, 2.0, -v65
	v_mul_f32_e32 v54, v65, v75
	v_fmac_f32_e32 v42, v7, v51
	v_fma_f32 v7, v37, 2.0, -v49
	v_fma_f32 v37, v66, 2.0, -v64
	s_wait_alu 0xf1ff
	v_add_co_ci_u32_e64 v102, s0, s5, v102, s0
	v_fma_f32 v67, v47, 2.0, -v63
	v_add_co_u32 v103, s0, s4, v103
	s_wait_alu 0xf1ff
	v_add_co_ci_u32_e64 v104, s0, s5, v104, s0
	v_fma_f32 v59, v48, 2.0, -v45
	v_add_co_u32 v105, s0, s4, v105
	v_fma_f32 v58, v95, v97, -v79
	v_fma_f32 v43, v45, v51, -v50
	;; [unrolled: 1-line block ×3, first 2 shown]
	v_mul_f32_e32 v5, v61, v76
	v_dual_fmac_f32 v46, v65, v56 :: v_dual_mul_f32 v53, v68, v82
	v_fma_f32 v47, v63, v56, -v54
	v_mul_f32_e32 v56, v7, v80
	v_mul_f32_e32 v52, v37, v80
	;; [unrolled: 1-line block ×3, first 2 shown]
	s_wait_alu 0xf1ff
	v_add_co_ci_u32_e64 v106, s0, s5, v106, s0
	v_fma_f32 v57, v91, v93, -v77
	v_dual_fmac_f32 v44, v60, v55 :: v_dual_mul_f32 v51, v49, v78
	v_mul_f32_e32 v50, v64, v78
	v_add_co_u32 v107, s0, s4, v107
	v_mul_f32_e32 v48, v59, v76
	s_wait_alu 0xf1ff
	v_add_co_ci_u32_e64 v108, s0, s5, v108, s0
	v_fma_f32 v55, v67, v58, -v53
	v_fma_f32 v53, v37, v73, -v56
	v_fmac_f32_e32 v52, v7, v73
	v_add_co_u32 v109, s0, s4, v109
	v_fmac_f32_e32 v54, v68, v58
	v_fma_f32 v51, v64, v57, -v51
	v_fmac_f32_e32 v50, v49, v57
	s_wait_alu 0xf1ff
	v_add_co_ci_u32_e64 v110, s0, s5, v110, s0
	v_fma_f32 v49, v59, v62, -v5
	v_fmac_f32_e32 v48, v61, v62
	s_clause 0x7
	global_store_b64 v[26:27], v[52:53], off
	global_store_b64 v[105:106], v[54:55], off
	;; [unrolled: 1-line block ×8, first 2 shown]
.LBB0_32:
	s_wait_alu 0xfffe
	s_or_b32 exec_lo, exec_lo, s1
	v_cmp_gt_u32_e64 s1, 0xc8, v0
	v_cmp_lt_u32_e64 s0, 0xc7, v0
	v_cndmask_b32_e64 v5, 0, 1, vcc_lo
	s_wait_alu 0xf1ff
	s_delay_alu instid0(VALU_DEP_3) | instskip(NEXT) | instid1(VALU_DEP_3)
	v_cndmask_b32_e64 v0, 0, 1, s1
	s_or_b32 vcc_lo, s0, s9
	s_mov_b32 s1, exec_lo
	s_wait_alu 0xfffe
	s_delay_alu instid0(VALU_DEP_1) | instskip(NEXT) | instid1(VALU_DEP_1)
	v_cndmask_b32_e32 v0, v5, v0, vcc_lo
	v_and_b32_e32 v0, 1, v0
	s_delay_alu instid0(VALU_DEP_1)
	v_cmpx_eq_u32_e32 1, v0
	s_cbranch_execz .LBB0_34
; %bb.33:
	s_wait_loadcnt_dscnt 0x802
	v_dual_mul_f32 v0, v36, v2 :: v_dual_mul_f32 v5, v38, v4
	s_wait_dscnt 0x0
	v_dual_mul_f32 v2, v32, v2 :: v_dual_mul_f32 v7, v39, v25
	v_dual_mul_f32 v4, v33, v4 :: v_dual_mul_f32 v25, v34, v25
	s_delay_alu instid0(VALU_DEP_3) | instskip(NEXT) | instid1(VALU_DEP_3)
	v_dual_fmac_f32 v0, v32, v1 :: v_dual_fmac_f32 v5, v33, v3
	v_fma_f32 v1, v36, v1, -v2
	s_delay_alu instid0(VALU_DEP_3) | instskip(SKIP_3) | instid1(VALU_DEP_3)
	v_fma_f32 v2, v38, v3, -v4
	v_fmac_f32_e32 v7, v34, v24
	v_fma_f32 v3, v39, v24, -v25
	v_sub_f32_e32 v4, v31, v5
	v_dual_sub_f32 v2, v35, v2 :: v_dual_sub_f32 v5, v0, v7
	s_delay_alu instid0(VALU_DEP_2) | instskip(NEXT) | instid1(VALU_DEP_2)
	v_fma_f32 v7, v31, 2.0, -v4
	v_fma_f32 v24, v35, 2.0, -v2
	v_sub_f32_e32 v3, v1, v3
	s_delay_alu instid0(VALU_DEP_4) | instskip(SKIP_1) | instid1(VALU_DEP_3)
	v_fma_f32 v0, v0, 2.0, -v5
	v_sub_f32_e32 v27, v2, v5
	v_fma_f32 v1, v1, 2.0, -v3
	s_wait_loadcnt 0x6
	s_delay_alu instid0(VALU_DEP_3) | instskip(NEXT) | instid1(VALU_DEP_2)
	v_dual_sub_f32 v25, v7, v0 :: v_dual_mul_f32 v0, v21, v23
	v_sub_f32_e32 v26, v24, v1
	s_delay_alu instid0(VALU_DEP_2) | instskip(SKIP_1) | instid1(VALU_DEP_4)
	v_fma_f32 v5, v7, 2.0, -v25
	v_mul_f32_e32 v1, v20, v23
	v_fma_f32 v20, v20, v22, -v0
	s_delay_alu instid0(VALU_DEP_4) | instskip(NEXT) | instid1(VALU_DEP_3)
	v_fma_f32 v7, v24, 2.0, -v26
	v_fmac_f32_e32 v1, v21, v22
	v_add_f32_e32 v23, v4, v3
	v_fma_f32 v21, v2, 2.0, -v27
	s_wait_loadcnt 0x4
	v_mul_f32_e32 v2, v17, v19
	v_mul_f32_e32 v0, v7, v1
	v_mul_f32_e32 v1, v5, v1
	v_fma_f32 v4, v4, 2.0, -v23
	s_wait_loadcnt 0x2
	s_delay_alu instid0(VALU_DEP_3) | instskip(NEXT) | instid1(VALU_DEP_3)
	v_dual_fmac_f32 v0, v5, v20 :: v_dual_mul_f32 v5, v12, v15
	v_fma_f32 v1, v7, v20, -v1
	v_cndmask_b32_e64 v7, 0, 0x96, s0
	s_delay_alu instid0(VALU_DEP_3) | instskip(SKIP_2) | instid1(VALU_DEP_2)
	v_fmac_f32_e32 v5, v13, v14
	v_mul_f32_e32 v3, v16, v19
	v_fma_f32 v16, v16, v18, -v2
	v_fmac_f32_e32 v3, v17, v18
	s_delay_alu instid0(VALU_DEP_1) | instskip(SKIP_1) | instid1(VALU_DEP_2)
	v_mul_f32_e32 v2, v21, v3
	v_mul_f32_e32 v3, v4, v3
	v_fmac_f32_e32 v2, v4, v16
	v_mul_f32_e32 v4, v13, v15
	s_wait_loadcnt 0x0
	v_mul_f32_e32 v15, v8, v11
	v_fma_f32 v3, v21, v16, -v3
	v_mul_f32_e32 v11, v9, v11
	v_add_nc_u32_e32 v16, v28, v7
	v_fma_f32 v13, v12, v14, -v4
	v_dual_fmac_f32 v15, v9, v10 :: v_dual_mul_f32 v4, v26, v5
	s_delay_alu instid0(VALU_DEP_4) | instskip(NEXT) | instid1(VALU_DEP_4)
	v_fma_f32 v8, v8, v10, -v11
	v_add_nc_u32_e32 v11, 50, v16
	v_mul_f32_e32 v5, v25, v5
	s_delay_alu instid0(VALU_DEP_4) | instskip(SKIP_2) | instid1(VALU_DEP_4)
	v_mul_f32_e32 v7, v27, v15
	v_dual_mul_f32 v14, v23, v15 :: v_dual_add_nc_u32 v15, 0x64, v16
	v_fmac_f32_e32 v4, v25, v13
	v_fma_f32 v5, v26, v13, -v5
	s_delay_alu instid0(VALU_DEP_4) | instskip(SKIP_4) | instid1(VALU_DEP_4)
	v_mad_co_u64_u32 v[9:10], null, s8, v16, v[6:7]
	v_mov_b32_e32 v10, 0
	v_mad_co_u64_u32 v[11:12], null, s8, v11, v[6:7]
	v_fmac_f32_e32 v7, v23, v8
	v_fma_f32 v8, v27, v8, -v14
	v_mov_b32_e32 v12, v10
	v_lshlrev_b64_e32 v[13:14], 3, v[9:10]
	v_add_nc_u32_e32 v9, 0x96, v16
	v_mad_co_u64_u32 v[15:16], null, s8, v15, v[6:7]
	s_delay_alu instid0(VALU_DEP_4) | instskip(SKIP_1) | instid1(VALU_DEP_4)
	v_lshlrev_b64_e32 v[11:12], 3, v[11:12]
	v_mov_b32_e32 v16, v10
	v_mad_co_u64_u32 v[17:18], null, s8, v9, v[6:7]
	v_mov_b32_e32 v18, v10
	v_add_co_u32 v13, vcc_lo, s4, v13
	s_wait_alu 0xfffd
	v_add_co_ci_u32_e32 v14, vcc_lo, s5, v14, vcc_lo
	v_lshlrev_b64_e32 v[15:16], 3, v[15:16]
	v_add_co_u32 v9, vcc_lo, s4, v11
	s_wait_alu 0xfffd
	v_add_co_ci_u32_e32 v10, vcc_lo, s5, v12, vcc_lo
	v_lshlrev_b64_e32 v[11:12], 3, v[17:18]
	s_delay_alu instid0(VALU_DEP_4) | instskip(SKIP_2) | instid1(VALU_DEP_3)
	v_add_co_u32 v15, vcc_lo, s4, v15
	s_wait_alu 0xfffd
	v_add_co_ci_u32_e32 v16, vcc_lo, s5, v16, vcc_lo
	v_add_co_u32 v11, vcc_lo, s4, v11
	s_wait_alu 0xfffd
	v_add_co_ci_u32_e32 v12, vcc_lo, s5, v12, vcc_lo
	s_clause 0x3
	global_store_b64 v[13:14], v[0:1], off
	global_store_b64 v[9:10], v[2:3], off
	;; [unrolled: 1-line block ×4, first 2 shown]
.LBB0_34:
	s_nop 0
	s_sendmsg sendmsg(MSG_DEALLOC_VGPRS)
	s_endpgm
	.section	.rodata,"a",@progbits
	.p2align	6, 0x0
	.amdhsa_kernel fft_rtc_back_len200_factors_5_5_2_4_wgs_400_tpt_20_halfLds_dim3_sp_ip_CI_sbcc_twdbase8_2step_dirReg_intrinsicReadWrite
		.amdhsa_group_segment_fixed_size 0
		.amdhsa_private_segment_fixed_size 0
		.amdhsa_kernarg_size 88
		.amdhsa_user_sgpr_count 2
		.amdhsa_user_sgpr_dispatch_ptr 0
		.amdhsa_user_sgpr_queue_ptr 0
		.amdhsa_user_sgpr_kernarg_segment_ptr 1
		.amdhsa_user_sgpr_dispatch_id 0
		.amdhsa_user_sgpr_private_segment_size 0
		.amdhsa_wavefront_size32 1
		.amdhsa_uses_dynamic_stack 0
		.amdhsa_enable_private_segment 0
		.amdhsa_system_sgpr_workgroup_id_x 1
		.amdhsa_system_sgpr_workgroup_id_y 0
		.amdhsa_system_sgpr_workgroup_id_z 0
		.amdhsa_system_sgpr_workgroup_info 0
		.amdhsa_system_vgpr_workitem_id 0
		.amdhsa_next_free_vgpr 114
		.amdhsa_next_free_sgpr 26
		.amdhsa_reserve_vcc 1
		.amdhsa_float_round_mode_32 0
		.amdhsa_float_round_mode_16_64 0
		.amdhsa_float_denorm_mode_32 3
		.amdhsa_float_denorm_mode_16_64 3
		.amdhsa_fp16_overflow 0
		.amdhsa_workgroup_processor_mode 1
		.amdhsa_memory_ordered 1
		.amdhsa_forward_progress 0
		.amdhsa_round_robin_scheduling 0
		.amdhsa_exception_fp_ieee_invalid_op 0
		.amdhsa_exception_fp_denorm_src 0
		.amdhsa_exception_fp_ieee_div_zero 0
		.amdhsa_exception_fp_ieee_overflow 0
		.amdhsa_exception_fp_ieee_underflow 0
		.amdhsa_exception_fp_ieee_inexact 0
		.amdhsa_exception_int_div_zero 0
	.end_amdhsa_kernel
	.text
.Lfunc_end0:
	.size	fft_rtc_back_len200_factors_5_5_2_4_wgs_400_tpt_20_halfLds_dim3_sp_ip_CI_sbcc_twdbase8_2step_dirReg_intrinsicReadWrite, .Lfunc_end0-fft_rtc_back_len200_factors_5_5_2_4_wgs_400_tpt_20_halfLds_dim3_sp_ip_CI_sbcc_twdbase8_2step_dirReg_intrinsicReadWrite
                                        ; -- End function
	.section	.AMDGPU.csdata,"",@progbits
; Kernel info:
; codeLenInByte = 8812
; NumSgprs: 28
; NumVgprs: 114
; ScratchSize: 0
; MemoryBound: 0
; FloatMode: 240
; IeeeMode: 1
; LDSByteSize: 0 bytes/workgroup (compile time only)
; SGPRBlocks: 3
; VGPRBlocks: 14
; NumSGPRsForWavesPerEU: 28
; NumVGPRsForWavesPerEU: 114
; Occupancy: 12
; WaveLimiterHint : 1
; COMPUTE_PGM_RSRC2:SCRATCH_EN: 0
; COMPUTE_PGM_RSRC2:USER_SGPR: 2
; COMPUTE_PGM_RSRC2:TRAP_HANDLER: 0
; COMPUTE_PGM_RSRC2:TGID_X_EN: 1
; COMPUTE_PGM_RSRC2:TGID_Y_EN: 0
; COMPUTE_PGM_RSRC2:TGID_Z_EN: 0
; COMPUTE_PGM_RSRC2:TIDIG_COMP_CNT: 0
	.text
	.p2alignl 7, 3214868480
	.fill 96, 4, 3214868480
	.type	__hip_cuid_1569bc2ef8e6ffb3,@object ; @__hip_cuid_1569bc2ef8e6ffb3
	.section	.bss,"aw",@nobits
	.globl	__hip_cuid_1569bc2ef8e6ffb3
__hip_cuid_1569bc2ef8e6ffb3:
	.byte	0                               ; 0x0
	.size	__hip_cuid_1569bc2ef8e6ffb3, 1

	.ident	"AMD clang version 19.0.0git (https://github.com/RadeonOpenCompute/llvm-project roc-6.4.0 25133 c7fe45cf4b819c5991fe208aaa96edf142730f1d)"
	.section	".note.GNU-stack","",@progbits
	.addrsig
	.addrsig_sym __hip_cuid_1569bc2ef8e6ffb3
	.amdgpu_metadata
---
amdhsa.kernels:
  - .args:
      - .actual_access:  read_only
        .address_space:  global
        .offset:         0
        .size:           8
        .value_kind:     global_buffer
      - .address_space:  global
        .offset:         8
        .size:           8
        .value_kind:     global_buffer
      - .actual_access:  read_only
        .address_space:  global
        .offset:         16
        .size:           8
        .value_kind:     global_buffer
      - .actual_access:  read_only
        .address_space:  global
        .offset:         24
        .size:           8
        .value_kind:     global_buffer
      - .offset:         32
        .size:           8
        .value_kind:     by_value
      - .actual_access:  read_only
        .address_space:  global
        .offset:         40
        .size:           8
        .value_kind:     global_buffer
      - .actual_access:  read_only
        .address_space:  global
        .offset:         48
        .size:           8
        .value_kind:     global_buffer
      - .offset:         56
        .size:           4
        .value_kind:     by_value
      - .actual_access:  read_only
        .address_space:  global
        .offset:         64
        .size:           8
        .value_kind:     global_buffer
      - .actual_access:  read_only
        .address_space:  global
        .offset:         72
        .size:           8
        .value_kind:     global_buffer
      - .address_space:  global
        .offset:         80
        .size:           8
        .value_kind:     global_buffer
    .group_segment_fixed_size: 0
    .kernarg_segment_align: 8
    .kernarg_segment_size: 88
    .language:       OpenCL C
    .language_version:
      - 2
      - 0
    .max_flat_workgroup_size: 400
    .name:           fft_rtc_back_len200_factors_5_5_2_4_wgs_400_tpt_20_halfLds_dim3_sp_ip_CI_sbcc_twdbase8_2step_dirReg_intrinsicReadWrite
    .private_segment_fixed_size: 0
    .sgpr_count:     28
    .sgpr_spill_count: 0
    .symbol:         fft_rtc_back_len200_factors_5_5_2_4_wgs_400_tpt_20_halfLds_dim3_sp_ip_CI_sbcc_twdbase8_2step_dirReg_intrinsicReadWrite.kd
    .uniform_work_group_size: 1
    .uses_dynamic_stack: false
    .vgpr_count:     114
    .vgpr_spill_count: 0
    .wavefront_size: 32
    .workgroup_processor_mode: 1
amdhsa.target:   amdgcn-amd-amdhsa--gfx1201
amdhsa.version:
  - 1
  - 2
...

	.end_amdgpu_metadata
